;; amdgpu-corpus repo=ROCm/rocFFT kind=compiled arch=gfx1201 opt=O3
	.text
	.amdgcn_target "amdgcn-amd-amdhsa--gfx1201"
	.amdhsa_code_object_version 6
	.protected	fft_rtc_back_len121_factors_11_11_wgs_121_tpt_11_half_op_CI_CI_sbrc_xy_z_unaligned ; -- Begin function fft_rtc_back_len121_factors_11_11_wgs_121_tpt_11_half_op_CI_CI_sbrc_xy_z_unaligned
	.globl	fft_rtc_back_len121_factors_11_11_wgs_121_tpt_11_half_op_CI_CI_sbrc_xy_z_unaligned
	.p2align	8
	.type	fft_rtc_back_len121_factors_11_11_wgs_121_tpt_11_half_op_CI_CI_sbrc_xy_z_unaligned,@function
fft_rtc_back_len121_factors_11_11_wgs_121_tpt_11_half_op_CI_CI_sbrc_xy_z_unaligned: ; @fft_rtc_back_len121_factors_11_11_wgs_121_tpt_11_half_op_CI_CI_sbrc_xy_z_unaligned
; %bb.0:
	s_load_b128 s[8:11], s[0:1], 0x10
	s_mov_b32 s2, ttmp9
	s_mov_b64 s[28:29], 0
	s_wait_kmcnt 0x0
	s_load_b128 s[4:7], s[8:9], 0x8
	s_clause 0x1
	s_load_b128 s[16:19], s[10:11], 0x0
	s_load_b64 s[24:25], s[10:11], 0x10
	s_wait_kmcnt 0x0
	s_add_co_i32 s3, s6, -1
	s_delay_alu instid0(SALU_CYCLE_1) | instskip(NEXT) | instid1(SALU_CYCLE_1)
	s_mul_hi_u32 s3, s3, 0xba2e8ba3
	s_lshr_b32 s3, s3, 3
	s_delay_alu instid0(SALU_CYCLE_1) | instskip(NEXT) | instid1(SALU_CYCLE_1)
	s_add_co_i32 s3, s3, 1
	s_mul_i32 s7, s3, s4
	s_delay_alu instid0(SALU_CYCLE_1) | instskip(SKIP_1) | instid1(SALU_CYCLE_2)
	s_cvt_f32_u32 s3, s7
	s_sub_co_i32 s8, 0, s7
	v_rcp_iflag_f32_e32 v1, s3
	s_delay_alu instid0(TRANS32_DEP_1) | instskip(SKIP_1) | instid1(VALU_DEP_2)
	v_readfirstlane_b32 s3, v1
	v_cvt_f32_u32_e32 v1, s4
	s_mul_f32 s3, s3, 0x4f7ffffe
	s_wait_alu 0xfffe
	s_delay_alu instid0(SALU_CYCLE_2) | instskip(SKIP_1) | instid1(SALU_CYCLE_2)
	s_cvt_u32_f32 s3, s3
	s_wait_alu 0xfffe
	s_mul_i32 s8, s8, s3
	s_delay_alu instid0(SALU_CYCLE_1) | instskip(NEXT) | instid1(SALU_CYCLE_1)
	s_mul_hi_u32 s8, s3, s8
	s_add_co_i32 s3, s3, s8
	s_wait_alu 0xfffe
	s_mul_hi_u32 s3, ttmp9, s3
	s_wait_alu 0xfffe
	s_mul_i32 s8, s3, s7
	s_add_co_i32 s9, s3, 1
	s_sub_co_i32 s8, ttmp9, s8
	s_delay_alu instid0(SALU_CYCLE_1)
	s_sub_co_i32 s12, s8, s7
	s_cmp_ge_u32 s8, s7
	s_cselect_b32 s3, s9, s3
	s_cselect_b32 s8, s12, s8
	s_wait_alu 0xfffe
	s_add_co_i32 s9, s3, 1
	s_cmp_ge_u32 s8, s7
	s_cselect_b32 s20, s9, s3
	s_mov_b32 s3, 0
	s_mul_i32 s7, s20, s7
	s_wait_alu 0xfffe
	s_mov_b32 s9, s3
	s_sub_co_i32 s8, ttmp9, s7
	s_delay_alu instid0(SALU_CYCLE_1) | instskip(NEXT) | instid1(VALU_DEP_1)
	v_cmp_lt_u64_e64 s7, s[8:9], s[4:5]
	s_and_b32 vcc_lo, exec_lo, s7
	s_cbranch_vccnz .LBB0_2
; %bb.1:
	v_rcp_iflag_f32_e32 v2, v1
	s_sub_co_i32 s9, 0, s4
	s_delay_alu instid0(TRANS32_DEP_1) | instskip(NEXT) | instid1(VALU_DEP_1)
	v_mul_f32_e32 v2, 0x4f7ffffe, v2
	v_cvt_u32_f32_e32 v2, v2
	s_delay_alu instid0(VALU_DEP_1) | instskip(SKIP_1) | instid1(VALU_DEP_1)
	v_readfirstlane_b32 s7, v2
	s_wait_alu 0xfffe
	s_mul_i32 s9, s9, s7
	s_wait_alu 0xfffe
	s_mul_hi_u32 s9, s7, s9
	s_wait_alu 0xfffe
	s_add_co_i32 s7, s7, s9
	s_delay_alu instid0(SALU_CYCLE_1) | instskip(NEXT) | instid1(SALU_CYCLE_1)
	s_mul_hi_u32 s7, s8, s7
	s_mul_i32 s9, s7, s4
	s_wait_alu 0xfffe
	s_sub_co_i32 s8, s8, s9
	s_add_co_i32 s9, s7, 1
	s_wait_alu 0xfffe
	s_sub_co_i32 s12, s8, s4
	s_cmp_ge_u32 s8, s4
	s_cselect_b32 s7, s9, s7
	s_cselect_b32 s8, s12, s8
	s_add_co_i32 s9, s7, 1
	s_wait_alu 0xfffe
	s_cmp_ge_u32 s8, s4
	s_cselect_b32 s28, s9, s7
.LBB0_2:
	s_load_b64 s[22:23], s[0:1], 0x20
	v_cmp_lt_u64_e64 s3, s[2:3], s[4:5]
	s_delay_alu instid0(VALU_DEP_1)
	s_and_b32 vcc_lo, exec_lo, s3
	s_cbranch_vccnz .LBB0_4
; %bb.3:
	v_rcp_iflag_f32_e32 v1, v1
	s_sub_co_i32 s5, 0, s4
	s_delay_alu instid0(TRANS32_DEP_1) | instskip(NEXT) | instid1(VALU_DEP_1)
	v_mul_f32_e32 v1, 0x4f7ffffe, v1
	v_cvt_u32_f32_e32 v1, v1
	s_delay_alu instid0(VALU_DEP_1) | instskip(SKIP_1) | instid1(VALU_DEP_1)
	v_readfirstlane_b32 s3, v1
	s_wait_alu 0xfffe
	s_mul_i32 s5, s5, s3
	s_wait_alu 0xfffe
	s_mul_hi_u32 s5, s3, s5
	s_wait_alu 0xfffe
	s_add_co_i32 s3, s3, s5
	s_wait_alu 0xfffe
	s_mul_hi_u32 s3, s2, s3
	s_wait_alu 0xfffe
	s_mul_i32 s3, s3, s4
	s_wait_alu 0xfffe
	s_sub_co_i32 s2, s2, s3
	s_wait_alu 0xfffe
	s_sub_co_i32 s3, s2, s4
	s_cmp_ge_u32 s2, s4
	s_wait_alu 0xfffe
	s_cselect_b32 s2, s3, s2
	s_wait_alu 0xfffe
	s_sub_co_i32 s3, s2, s4
	s_cmp_ge_u32 s2, s4
	s_wait_alu 0xfffe
	s_cselect_b32 s2, s3, s2
.LBB0_4:
	s_clause 0x1
	s_load_b128 s[12:15], s[0:1], 0x0
	s_load_b64 s[26:27], s[0:1], 0x58
	v_mul_u32_u24_e32 v1, 0x21e, v0
	s_mov_b32 s19, 0
	s_mov_b32 s3, -1
	s_mov_b32 s21, s19
	s_delay_alu instid0(VALU_DEP_1) | instskip(NEXT) | instid1(VALU_DEP_1)
	v_lshrrev_b32_e32 v3, 16, v1
	v_mul_lo_u16 v1, 0x79, v3
	s_delay_alu instid0(VALU_DEP_1) | instskip(SKIP_2) | instid1(VALU_DEP_1)
	v_sub_nc_u16 v1, v0, v1
	s_wait_kmcnt 0x0
	s_lshl_b64 s[4:5], s[14:15], 3
	v_and_b32_e32 v4, 0xffff, v1
	s_wait_alu 0xfffe
	s_add_nc_u64 s[8:9], s[10:11], s[4:5]
	s_add_nc_u64 s[4:5], s[22:23], s[4:5]
	s_load_b64 s[30:31], s[8:9], 0x0
	s_clause 0x2
	s_load_b128 s[8:11], s[22:23], 0x0
	s_load_b64 s[22:23], s[22:23], 0x10
	s_load_b64 s[14:15], s[4:5], 0x0
	s_mul_i32 s4, s28, 11
	s_mul_i32 s5, s2, s18
	s_wait_alu 0xfffe
	s_mul_i32 s7, s4, s24
	s_wait_kmcnt 0x0
	s_add_co_i32 s11, s4, 11
	s_add_co_i32 s18, s5, s7
	s_cmp_le_u32 s11, s6
	s_cselect_b32 s5, -1, 0
	s_wait_alu 0xfffe
	s_and_b32 vcc_lo, exec_lo, s5
	s_mul_u64 s[28:29], s[30:31], s[20:21]
	s_delay_alu instid0(SALU_CYCLE_1)
	s_add_nc_u64 s[18:19], s[28:29], s[18:19]
	s_cbranch_vccnz .LBB0_9
; %bb.5:
	v_add_nc_u32_e32 v5, s4, v3
	s_mov_b32 s3, exec_lo
	s_delay_alu instid0(VALU_DEP_1)
	v_cmpx_gt_u32_e64 s6, v5
	s_cbranch_execz .LBB0_8
; %bb.6:
	v_mad_co_u64_u32 v[1:2], null, s16, v4, 0
	s_lshl_b64 s[28:29], s[18:19], 2
	s_mov_b32 s7, 0
	s_add_nc_u64 s[28:29], s[26:27], s[28:29]
	s_mov_b32 s11, 0
	v_lshlrev_b32_e32 v9, 2, v4
	s_delay_alu instid0(VALU_DEP_2) | instskip(NEXT) | instid1(VALU_DEP_1)
	v_mad_co_u64_u32 v[6:7], null, s17, v4, v[2:3]
	v_mov_b32_e32 v2, v6
	v_mul_u32_u24_e32 v6, 0x1e4, v3
	s_delay_alu instid0(VALU_DEP_2) | instskip(SKIP_1) | instid1(VALU_DEP_3)
	v_lshlrev_b64_e32 v[7:8], 2, v[1:2]
	v_mul_lo_u32 v1, v3, s24
	v_add3_u32 v6, v6, v9, 0
	v_mov_b32_e32 v2, 0
	s_delay_alu instid0(VALU_DEP_4)
	v_add_co_u32 v7, vcc_lo, s28, v7
	v_add_co_ci_u32_e32 v8, vcc_lo, s29, v8, vcc_lo
.LBB0_7:                                ; =>This Inner Loop Header: Depth=1
	s_delay_alu instid0(VALU_DEP_3) | instskip(SKIP_2) | instid1(VALU_DEP_2)
	v_lshlrev_b64_e32 v[9:10], 2, v[1:2]
	s_add_co_i32 s11, s11, 1
	v_add_nc_u32_e32 v1, s24, v1
	v_add_co_u32 v9, vcc_lo, v7, v9
	s_wait_alu 0xfffd
	s_delay_alu instid0(VALU_DEP_3) | instskip(SKIP_3) | instid1(VALU_DEP_1)
	v_add_co_ci_u32_e32 v10, vcc_lo, v8, v10, vcc_lo
	global_load_b32 v9, v[9:10], off
	s_wait_alu 0xfffe
	v_add_nc_u32_e32 v10, s11, v5
	v_cmp_le_u32_e32 vcc_lo, s6, v10
	s_or_b32 s7, vcc_lo, s7
	s_wait_loadcnt 0x0
	ds_store_b32 v6, v9
	v_add_nc_u32_e32 v6, 0x1e4, v6
	s_wait_alu 0xfffe
	s_and_not1_b32 exec_lo, exec_lo, s7
	s_cbranch_execnz .LBB0_7
.LBB0_8:
	s_wait_alu 0xfffe
	s_or_b32 exec_lo, exec_lo, s3
	s_mov_b32 s3, 0
.LBB0_9:
	s_wait_alu 0xfffe
	s_and_not1_b32 vcc_lo, exec_lo, s3
	s_wait_alu 0xfffe
	s_cbranch_vccnz .LBB0_11
; %bb.10:
	v_mad_co_u64_u32 v[1:2], null, s16, v4, 0
	v_mul_lo_u32 v5, s24, v3
	v_mov_b32_e32 v6, 0
	s_delay_alu instid0(VALU_DEP_3) | instskip(NEXT) | instid1(VALU_DEP_2)
	v_mad_co_u64_u32 v[9:10], null, s17, v4, v[2:3]
	v_lshlrev_b64_e32 v[7:8], 2, v[5:6]
	v_add_nc_u32_e32 v5, s24, v5
	s_lshl_b64 s[16:17], s[18:19], 2
	v_mul_u32_u24_e32 v3, 0x1e4, v3
	s_wait_alu 0xfffe
	s_add_nc_u64 s[16:17], s[26:27], s[16:17]
	v_lshlrev_b32_e32 v4, 2, v4
	v_lshlrev_b64_e32 v[10:11], 2, v[5:6]
	v_dual_mov_b32 v2, v9 :: v_dual_add_nc_u32 v5, s24, v5
	s_delay_alu instid0(VALU_DEP_3) | instskip(NEXT) | instid1(VALU_DEP_2)
	v_add3_u32 v3, 0, v3, v4
	v_lshlrev_b64_e32 v[12:13], 2, v[5:6]
	s_delay_alu instid0(VALU_DEP_3) | instskip(SKIP_1) | instid1(VALU_DEP_4)
	v_lshlrev_b64_e32 v[1:2], 2, v[1:2]
	v_add_nc_u32_e32 v5, s24, v5
	v_add_nc_u32_e32 v4, 0x200, v3
	s_delay_alu instid0(VALU_DEP_2) | instskip(SKIP_1) | instid1(VALU_DEP_4)
	v_lshlrev_b64_e32 v[14:15], 2, v[5:6]
	s_wait_alu 0xfffe
	v_add_co_u32 v25, vcc_lo, s16, v1
	s_wait_alu 0xfffd
	v_add_co_ci_u32_e32 v26, vcc_lo, s17, v2, vcc_lo
	v_add_nc_u32_e32 v5, s24, v5
	s_delay_alu instid0(VALU_DEP_3) | instskip(SKIP_1) | instid1(VALU_DEP_3)
	v_add_co_u32 v1, vcc_lo, v25, v7
	s_wait_alu 0xfffd
	v_add_co_ci_u32_e32 v2, vcc_lo, v26, v8, vcc_lo
	v_add_co_u32 v7, vcc_lo, v25, v10
	v_lshlrev_b64_e32 v[16:17], 2, v[5:6]
	v_add_nc_u32_e32 v5, s24, v5
	s_wait_alu 0xfffd
	v_add_co_ci_u32_e32 v8, vcc_lo, v26, v11, vcc_lo
	v_add_co_u32 v9, vcc_lo, v25, v12
	s_wait_alu 0xfffd
	v_add_co_ci_u32_e32 v10, vcc_lo, v26, v13, vcc_lo
	v_add_co_u32 v11, vcc_lo, v25, v14
	v_lshlrev_b64_e32 v[13:14], 2, v[5:6]
	v_add_nc_u32_e32 v5, s24, v5
	s_wait_alu 0xfffd
	v_add_co_ci_u32_e32 v12, vcc_lo, v26, v15, vcc_lo
	v_add_co_u32 v15, vcc_lo, v25, v16
	s_wait_alu 0xfffd
	v_add_co_ci_u32_e32 v16, vcc_lo, v26, v17, vcc_lo
	v_lshlrev_b64_e32 v[17:18], 2, v[5:6]
	v_add_nc_u32_e32 v5, s24, v5
	v_add_co_u32 v13, vcc_lo, v25, v13
	s_wait_alu 0xfffd
	v_add_co_ci_u32_e32 v14, vcc_lo, v26, v14, vcc_lo
	s_delay_alu instid0(VALU_DEP_3) | instskip(SKIP_4) | instid1(VALU_DEP_3)
	v_lshlrev_b64_e32 v[19:20], 2, v[5:6]
	v_add_nc_u32_e32 v5, s24, v5
	v_add_co_u32 v17, vcc_lo, v25, v17
	s_wait_alu 0xfffd
	v_add_co_ci_u32_e32 v18, vcc_lo, v26, v18, vcc_lo
	v_lshlrev_b64_e32 v[21:22], 2, v[5:6]
	v_add_nc_u32_e32 v5, s24, v5
	v_add_co_u32 v19, vcc_lo, v25, v19
	s_wait_alu 0xfffd
	v_add_co_ci_u32_e32 v20, vcc_lo, v26, v20, vcc_lo
	s_delay_alu instid0(VALU_DEP_3) | instskip(SKIP_4) | instid1(VALU_DEP_3)
	v_lshlrev_b64_e32 v[23:24], 2, v[5:6]
	v_add_nc_u32_e32 v5, s24, v5
	v_add_co_u32 v21, vcc_lo, v25, v21
	s_wait_alu 0xfffd
	v_add_co_ci_u32_e32 v22, vcc_lo, v26, v22, vcc_lo
	v_lshlrev_b64_e32 v[5:6], 2, v[5:6]
	v_add_co_u32 v23, vcc_lo, v25, v23
	s_wait_alu 0xfffd
	v_add_co_ci_u32_e32 v24, vcc_lo, v26, v24, vcc_lo
	s_delay_alu instid0(VALU_DEP_3)
	v_add_co_u32 v5, vcc_lo, v25, v5
	s_wait_alu 0xfffd
	v_add_co_ci_u32_e32 v6, vcc_lo, v26, v6, vcc_lo
	s_clause 0xa
	global_load_b32 v1, v[1:2], off
	global_load_b32 v2, v[7:8], off
	;; [unrolled: 1-line block ×11, first 2 shown]
	v_add_nc_u32_e32 v6, 0x600, v3
	v_add_nc_u32_e32 v15, 0xa00, v3
	v_add_nc_u32_e32 v16, 0xe00, v3
	s_wait_loadcnt 0x9
	ds_store_2addr_b32 v3, v1, v2 offset1:121
	s_wait_loadcnt 0x7
	ds_store_2addr_b32 v4, v7, v8 offset0:114 offset1:235
	s_wait_loadcnt 0x5
	ds_store_2addr_b32 v6, v9, v10 offset0:100 offset1:221
	;; [unrolled: 2-line block ×4, first 2 shown]
	s_wait_loadcnt 0x0
	ds_store_b32 v3, v5 offset:4840
.LBB0_11:
	v_and_b32_e32 v1, 0xffff, v0
	v_mul_hi_u32 v4, 0x1745d175, v0
	global_wb scope:SCOPE_SE
	s_wait_dscnt 0x0
	s_barrier_signal -1
	s_barrier_wait -1
	v_mul_u32_u24_e32 v1, 0x1746, v1
	global_inv scope:SCOPE_SE
	s_mov_b32 s3, 0
	v_mul_u32_u24_e32 v4, 11, v4
	v_lshrrev_b32_e32 v1, 16, v1
	s_delay_alu instid0(VALU_DEP_2) | instskip(NEXT) | instid1(VALU_DEP_2)
	v_sub_nc_u32_e32 v0, v0, v4
	v_add_nc_u32_e32 v2, s4, v1
	s_delay_alu instid0(VALU_DEP_2) | instskip(NEXT) | instid1(VALU_DEP_2)
	v_lshlrev_b32_e32 v4, 2, v0
	v_mul_hi_u32 v3, 0xba2e8ba3, v2
	s_delay_alu instid0(VALU_DEP_1) | instskip(NEXT) | instid1(VALU_DEP_1)
	v_lshrrev_b32_e32 v3, 3, v3
	v_mul_lo_u32 v3, v3, 11
	s_delay_alu instid0(VALU_DEP_1) | instskip(NEXT) | instid1(VALU_DEP_1)
	v_sub_nc_u32_e32 v2, v2, v3
	v_mul_u32_u24_e32 v2, 0x79, v2
	s_delay_alu instid0(VALU_DEP_1) | instskip(NEXT) | instid1(VALU_DEP_1)
	v_lshlrev_b32_e32 v2, 2, v2
	v_add3_u32 v3, 0, v2, v4
	v_add3_u32 v2, 0, v4, v2
	ds_load_b32 v15, v3
	ds_load_2addr_b32 v[5:6], v2 offset0:11 offset1:22
	ds_load_2addr_b32 v[7:8], v2 offset0:33 offset1:44
	;; [unrolled: 1-line block ×5, first 2 shown]
	v_mad_u32_u24 v4, v0, 40, v2
	global_wb scope:SCOPE_SE
	s_wait_dscnt 0x0
	s_barrier_signal -1
	s_barrier_wait -1
	global_inv scope:SCOPE_SE
	v_lshrrev_b32_e32 v16, 16, v15
	v_alignbit_b32 v18, s0, v5, 16
	v_pk_add_f16 v17, v5, v15 op_sel_hi:[1,0]
	v_alignbit_b32 v19, s0, v6, 16
	v_alignbit_b32 v20, s0, v7, 16
	v_pk_add_f16 v29, v13, v6
	v_pk_add_f16 v18, v18, v15 op_sel:[0,1] op_sel_hi:[1,0]
	v_pk_add_f16 v30, v6, v13 neg_lo:[0,1] neg_hi:[0,1]
	v_pk_add_f16 v6, v17, v6
	v_alignbit_b32 v21, s0, v8, 16
	v_alignbit_b32 v22, s0, v9, 16
	v_pk_add_f16 v18, v18, v19
	v_pk_add_f16 v28, v14, v5
	;; [unrolled: 1-line block ×3, first 2 shown]
	v_pk_add_f16 v5, v5, v14 neg_lo:[0,1] neg_hi:[0,1]
	v_alignbit_b32 v23, s0, v10, 16
	v_pk_add_f16 v18, v18, v20
	v_lshrrev_b32_e32 v31, 16, v28
	v_pk_add_f16 v6, v6, v8
	v_lshrrev_b32_e32 v17, 16, v5
	v_alignbit_b32 v24, s0, v11, 16
	v_pk_add_f16 v18, v18, v21
	v_pk_mul_f16 v32, 0xbbad, v28 op_sel_hi:[0,1]
	v_pk_add_f16 v6, v6, v9
	v_mul_f16_e32 v19, 0xb853, v17
	v_mul_f16_e32 v35, 0x3abb, v31
	v_pk_add_f16 v18, v18, v22
	v_mul_f16_e32 v36, 0xbb47, v17
	v_mul_f16_e32 v37, 0x36a6, v31
	;; [unrolled: 1-line block ×4, first 2 shown]
	v_pk_add_f16 v6, v6, v10
	v_pk_add_f16 v18, v18, v23
	v_alignbit_b32 v25, s0, v12, 16
	v_mul_f16_e32 v39, 0xb08e, v31
	v_mul_f16_e32 v31, 0xb93d, v31
	v_pk_fma_f16 v40, 0xb482, v5, v32 op_sel:[0,0,1] op_sel_hi:[0,1,0]
	v_pk_fma_f16 v32, 0xb482, v5, v32 op_sel:[0,0,1] op_sel_hi:[0,1,0] neg_lo:[0,1,0] neg_hi:[0,1,0]
	v_fmamk_f16 v20, v28, 0x3abb, v19
	v_fmamk_f16 v47, v5, 0x3853, v35
	v_fma_f16 v19, v28, 0x3abb, -v19
	v_fmamk_f16 v48, v28, 0x36a6, v36
	v_fmamk_f16 v49, v5, 0x3b47, v37
	v_fma_f16 v36, v28, 0x36a6, -v36
	v_fmac_f16_e32 v37, 0xbb47, v5
	v_fmamk_f16 v50, v28, 0xb08e, v38
	v_fma_f16 v38, v28, 0xb08e, -v38
	v_fmamk_f16 v52, v28, 0xb93d, v17
	v_fma_f16 v17, v28, 0xb93d, -v17
	v_pk_add_f16 v6, v6, v11
	v_pk_add_f16 v18, v18, v24
	v_alignbit_b32 v26, s0, v13, 16
	v_fmac_f16_e32 v35, 0xb853, v5
	v_fmamk_f16 v51, v5, 0x3beb, v39
	v_fmac_f16_e32 v39, 0xbbeb, v5
	v_fmamk_f16 v53, v5, 0x3a0c, v31
	v_fmac_f16_e32 v31, 0xba0c, v5
	v_pk_add_f16 v5, v40, v15 op_sel:[0,1] op_sel_hi:[1,0]
	v_pk_add_f16 v28, v32, v15 op_sel:[0,1] op_sel_hi:[1,0]
	v_add_f16_e32 v20, v20, v15
	v_add_f16_e32 v21, v47, v16
	;; [unrolled: 1-line block ×10, first 2 shown]
	v_pk_add_f16 v6, v6, v12
	v_pk_add_f16 v17, v18, v25
	v_alignbit_b32 v27, s0, v14, 16
	v_lshrrev_b32_e32 v33, 16, v30
	v_lshrrev_b32_e32 v34, 16, v29
	v_pk_add_f16 v6, v6, v13
	v_pk_add_f16 v13, v17, v26
	v_add_f16_e32 v35, v35, v16
	v_mul_f16_e32 v41, 0xbb47, v33
	v_mul_f16_e32 v42, 0x36a6, v34
	v_pk_add_f16 v6, v6, v14
	v_pk_add_f16 v13, v13, v27
	v_mul_f16_e32 v43, 0xba0c, v33
	v_fmamk_f16 v32, v29, 0x36a6, v41
	v_fmamk_f16 v40, v30, 0x3b47, v42
	v_fma_f16 v41, v29, 0x36a6, -v41
	v_fmac_f16_e32 v42, 0xbb47, v30
	v_perm_b32 v6, v6, v13, 0x1000504
	v_mul_f16_e32 v13, 0x3beb, v33
	v_mul_f16_e32 v44, 0xb93d, v34
	;; [unrolled: 1-line block ×3, first 2 shown]
	v_add_f16_e32 v48, v49, v16
	v_add_f16_e32 v23, v51, v16
	;; [unrolled: 1-line block ×8, first 2 shown]
	v_mul_f16_e32 v31, 0xb08e, v34
	v_fmamk_f16 v32, v29, 0xb08e, v13
	v_pk_add_f16 v35, v7, v12 neg_lo:[0,1] neg_hi:[0,1]
	v_fma_f16 v13, v29, 0xb08e, -v13
	v_pk_add_f16 v7, v12, v7
	v_mul_f16_e32 v46, 0xbbad, v34
	v_fmamk_f16 v54, v29, 0xb93d, v43
	v_fmamk_f16 v55, v30, 0x3a0c, v44
	v_fma_f16 v43, v29, 0xb93d, -v43
	v_fmac_f16_e32 v44, 0xba0c, v30
	v_fmamk_f16 v56, v29, 0xbbad, v45
	v_fma_f16 v27, v29, 0xbbad, -v45
	v_fmamk_f16 v34, v30, 0xbbeb, v31
	v_add_f16_e32 v24, v32, v24
	v_lshrrev_b32_e32 v32, 16, v35
	v_pk_mul_f16 v29, 0x3abb, v29 op_sel_hi:[0,1]
	v_add_f16_e32 v13, v13, v15
	v_lshrrev_b32_e32 v15, 16, v7
	v_fmamk_f16 v57, v30, 0xb482, v46
	v_add_f16_e32 v25, v44, v36
	v_fmac_f16_e32 v46, 0x3482, v30
	v_add_f16_e32 v12, v34, v49
	v_fmac_f16_e32 v31, 0x3beb, v30
	v_mul_f16_e32 v34, 0xbbeb, v32
	v_pk_fma_f16 v36, 0x3853, v30, v29 op_sel:[0,0,1] op_sel_hi:[0,1,0]
	v_pk_fma_f16 v29, 0x3853, v30, v29 op_sel:[0,0,1] op_sel_hi:[0,1,0] neg_lo:[0,1,0] neg_hi:[0,1,0]
	v_mul_f16_e32 v30, 0xb08e, v15
	v_add_f16_e32 v20, v40, v21
	v_add_f16_e32 v16, v31, v16
	v_fmamk_f16 v31, v7, 0xb08e, v34
	v_pk_add_f16 v5, v36, v5
	v_pk_add_f16 v28, v29, v28
	v_fmamk_f16 v29, v35, 0x3beb, v30
	v_mul_f16_e32 v36, 0x3482, v32
	v_add_f16_e32 v21, v54, v47
	v_add_f16_e32 v18, v31, v18
	v_fma_f16 v31, v7, 0xb08e, -v34
	v_add_f16_e32 v20, v29, v20
	v_fmamk_f16 v29, v7, 0xbbad, v36
	v_mul_f16_e32 v34, 0xbbad, v15
	v_add_f16_e32 v14, v55, v48
	v_add_f16_e32 v22, v43, v22
	;; [unrolled: 1-line block ×3, first 2 shown]
	v_fmac_f16_e32 v30, 0xbbeb, v35
	v_add_f16_e32 v17, v31, v17
	v_add_f16_e32 v21, v29, v21
	v_fmamk_f16 v29, v35, 0xb482, v34
	v_fma_f16 v31, v7, 0xbbad, -v36
	v_mul_f16_e32 v37, 0x36a6, v15
	v_add_f16_e32 v23, v57, v23
	v_add_f16_e32 v33, v46, v39
	;; [unrolled: 1-line block ×3, first 2 shown]
	v_mul_f16_e32 v30, 0x3b47, v32
	v_add_f16_e32 v14, v29, v14
	v_add_f16_e32 v22, v31, v22
	v_fmamk_f16 v29, v35, 0xbb47, v37
	v_mul_f16_e32 v31, 0xb853, v32
	v_fmac_f16_e32 v37, 0x3b47, v35
	v_add_f16_e32 v27, v27, v38
	v_fmamk_f16 v36, v7, 0x36a6, v30
	v_fma_f16 v30, v7, 0x36a6, -v30
	v_mul_f16_e32 v15, 0x3abb, v15
	v_add_f16_e32 v23, v29, v23
	v_fmamk_f16 v29, v7, 0x3abb, v31
	v_add_f16_e32 v32, v37, v33
	v_pk_add_f16 v33, v8, v11 neg_lo:[0,1] neg_hi:[0,1]
	v_add_f16_e32 v27, v30, v27
	v_fmamk_f16 v30, v35, 0x3853, v15
	v_add_f16_e32 v24, v29, v24
	v_fma_f16 v29, v7, 0x3abb, -v31
	v_pk_add_f16 v8, v11, v8
	v_lshrrev_b32_e32 v11, 16, v33
	v_pk_mul_f16 v7, 0xb93d, v7 op_sel_hi:[0,1]
	v_fmac_f16_e32 v34, 0x3482, v35
	v_add_f16_e32 v12, v30, v12
	v_add_f16_e32 v13, v29, v13
	v_fmac_f16_e32 v15, 0xb853, v35
	v_lshrrev_b32_e32 v29, 16, v8
	v_mul_f16_e32 v30, 0xba0c, v11
	v_pk_fma_f16 v31, 0xba0c, v35, v7 op_sel:[0,0,1] op_sel_hi:[0,1,0]
	v_pk_fma_f16 v7, 0xba0c, v35, v7 op_sel:[0,0,1] op_sel_hi:[0,1,0] neg_lo:[0,1,0] neg_hi:[0,1,0]
	v_add_f16_e32 v25, v34, v25
	v_add_f16_e32 v15, v15, v16
	v_mul_f16_e32 v16, 0xb93d, v29
	v_fmamk_f16 v34, v8, 0xb93d, v30
	v_pk_add_f16 v7, v7, v28
	v_mul_f16_e32 v28, 0x3beb, v11
	v_pk_add_f16 v5, v31, v5
	v_fmamk_f16 v31, v33, 0x3a0c, v16
	v_add_f16_e32 v18, v34, v18
	v_fmac_f16_e32 v16, 0xba0c, v33
	v_fmamk_f16 v34, v8, 0xb08e, v28
	v_fma_f16 v30, v8, 0xb93d, -v30
	v_add_f16_e32 v20, v31, v20
	v_mul_f16_e32 v31, 0xb08e, v29
	v_add_f16_e32 v16, v16, v19
	v_add_f16_e32 v19, v34, v21
	v_mul_f16_e32 v21, 0xb853, v11
	v_add_f16_e32 v17, v30, v17
	v_fmamk_f16 v30, v33, 0xbbeb, v31
	v_fma_f16 v28, v8, 0xb08e, -v28
	v_mul_f16_e32 v34, 0x3abb, v29
	v_fmamk_f16 v35, v8, 0x3abb, v21
	v_fma_f16 v21, v8, 0x3abb, -v21
	v_mul_f16_e32 v29, 0xbbad, v29
	v_add_f16_e32 v14, v30, v14
	v_add_f16_e32 v22, v28, v22
	v_fmamk_f16 v28, v33, 0x3853, v34
	v_mul_f16_e32 v11, 0xb482, v11
	v_add_f16_e32 v21, v21, v27
	v_fmamk_f16 v27, v33, 0x3482, v29
	v_pk_add_f16 v30, v9, v10 neg_lo:[0,1] neg_hi:[0,1]
	v_add_f16_e32 v23, v28, v23
	v_fmamk_f16 v28, v8, 0xbbad, v11
	v_fma_f16 v11, v8, 0xbbad, -v11
	v_add_f16_e32 v12, v27, v12
	v_lshrrev_b32_e32 v27, 16, v30
	v_pk_mul_f16 v8, 0x36a6, v8 op_sel_hi:[0,1]
	v_pk_add_f16 v9, v10, v9
	v_add_f16_e32 v24, v28, v24
	v_add_f16_e32 v10, v11, v13
	v_fmac_f16_e32 v29, 0xb482, v33
	v_mul_f16_e32 v11, 0xb482, v27
	v_pk_fma_f16 v28, 0x3b47, v33, v8 op_sel:[0,0,1] op_sel_hi:[0,1,0]
	v_pk_fma_f16 v8, 0x3b47, v33, v8 op_sel:[0,0,1] op_sel_hi:[0,1,0] neg_lo:[0,1,0] neg_hi:[0,1,0]
	v_fmac_f16_e32 v31, 0x3beb, v33
	v_fmac_f16_e32 v34, 0xb853, v33
	v_lshrrev_b32_e32 v13, 16, v9
	v_add_f16_e32 v15, v29, v15
	v_fmamk_f16 v29, v9, 0xbbad, v11
	v_pk_add_f16 v7, v8, v7
	v_mul_f16_e32 v8, 0x3853, v27
	v_add_f16_e32 v25, v31, v25
	v_add_f16_e32 v31, v34, v32
	v_mul_f16_e32 v32, 0xbbad, v13
	v_add_f16_e32 v18, v29, v18
	v_fma_f16 v11, v9, 0xbbad, -v11
	v_fmamk_f16 v29, v9, 0x3abb, v8
	v_mul_f16_e32 v33, 0x3abb, v13
	v_pk_add_f16 v5, v28, v5
	v_fmamk_f16 v28, v30, 0x3482, v32
	v_add_f16_e32 v11, v11, v17
	v_add_f16_e32 v17, v29, v19
	v_fmamk_f16 v19, v30, 0xb853, v33
	v_fma_f16 v8, v9, 0x3abb, -v8
	v_fmac_f16_e32 v33, 0x3853, v30
	v_mul_f16_e32 v29, 0xb93d, v13
	v_add_f16_e32 v26, v36, v26
	v_add_f16_e32 v20, v28, v20
	v_mul_f16_e32 v28, 0xba0c, v27
	v_add_f16_e32 v8, v8, v22
	v_add_f16_e32 v22, v33, v25
	v_fmamk_f16 v25, v30, 0x3a0c, v29
	v_mul_f16_e32 v27, 0x3b47, v27
	v_add_f16_e32 v26, v35, v26
	v_add_f16_e32 v14, v19, v14
	v_fmamk_f16 v19, v9, 0xb93d, v28
	v_add_f16_e32 v23, v25, v23
	v_fmamk_f16 v25, v9, 0x36a6, v27
	v_mul_f16_e32 v13, 0x36a6, v13
	v_fmac_f16_e32 v32, 0xb482, v30
	v_add_f16_e32 v19, v19, v26
	v_fma_f16 v26, v9, 0xb93d, -v28
	v_pk_mul_f16 v28, 0xb08e, v9 op_sel_hi:[0,1]
	v_add_f16_e32 v24, v25, v24
	v_fmamk_f16 v25, v30, 0xbb47, v13
	v_fma_f16 v9, v9, 0x36a6, -v27
	v_fmac_f16_e32 v13, 0x3b47, v30
	v_pk_fma_f16 v27, 0xbbeb, v30, v28 op_sel:[0,0,1] op_sel_hi:[0,1,0]
	v_pk_fma_f16 v28, 0xbbeb, v30, v28 op_sel:[0,0,1] op_sel_hi:[0,1,0] neg_lo:[0,1,0] neg_hi:[0,1,0]
	v_fmac_f16_e32 v29, 0xba0c, v30
	v_add_f16_e32 v16, v32, v16
	v_add_f16_e32 v9, v9, v10
	;; [unrolled: 1-line block ×4, first 2 shown]
	v_pk_add_f16 v5, v27, v5
	v_pk_add_f16 v7, v28, v7
	v_add_f16_e32 v21, v26, v21
	v_add_f16_e32 v26, v29, v31
	v_pack_b32_f16 v9, v9, v10
	v_pack_b32_f16 v10, v11, v16
	v_mul_u32_u24_e32 v11, 10, v0
	v_pack_b32_f16 v13, v17, v14
	v_pack_b32_f16 v14, v18, v20
	;; [unrolled: 1-line block ×4, first 2 shown]
	v_alignbit_b32 v17, v5, v7, 16
	v_alignbit_b32 v5, v7, v5, 16
	v_pack_b32_f16 v7, v21, v26
	v_pack_b32_f16 v8, v8, v22
	ds_store_b32 v4, v6
	ds_store_2addr_b32 v4, v14, v13 offset0:1 offset1:2
	ds_store_2addr_b32 v4, v15, v12 offset0:3 offset1:4
	;; [unrolled: 1-line block ×5, first 2 shown]
	v_lshlrev_b32_e32 v12, 2, v11
	global_wb scope:SCOPE_SE
	s_wait_dscnt 0x0
	s_barrier_signal -1
	s_barrier_wait -1
	global_inv scope:SCOPE_SE
	s_clause 0x2
	global_load_b128 v[4:7], v12, s[12:13]
	global_load_b128 v[8:11], v12, s[12:13] offset:16
	global_load_b64 v[12:13], v12, s[12:13] offset:32
	ds_load_2addr_b32 v[14:15], v2 offset0:55 offset1:66
	ds_load_2addr_b32 v[16:17], v2 offset0:77 offset1:88
	;; [unrolled: 1-line block ×5, first 2 shown]
	ds_load_b32 v3, v3
	ds_load_u16 v24, v2 offset:222
	global_wb scope:SCOPE_SE
	s_wait_loadcnt_dscnt 0x0
	s_barrier_signal -1
	s_barrier_wait -1
	global_inv scope:SCOPE_SE
	v_lshrrev_b32_e32 v25, 16, v15
	v_lshrrev_b32_e32 v26, 16, v16
	;; [unrolled: 1-line block ×15, first 2 shown]
	v_mul_f16_e32 v45, v35, v30
	v_mul_f16_e32 v35, v35, v20
	v_lshrrev_b32_e32 v37, 16, v6
	v_mul_f16_e32 v46, v36, v31
	v_mul_f16_e32 v36, v36, v21
	;; [unrolled: 1-line block ×6, first 2 shown]
	v_fmac_f16_e32 v45, v4, v20
	v_fma_f16 v4, v4, v30, -v35
	v_lshrrev_b32_e32 v38, 16, v7
	v_mul_f16_e32 v47, v37, v32
	v_mul_f16_e32 v37, v37, v22
	;; [unrolled: 1-line block ×4, first 2 shown]
	v_fmac_f16_e32 v46, v5, v21
	v_fma_f16 v5, v5, v31, -v36
	v_fmac_f16_e32 v49, v8, v14
	v_fmac_f16_e32 v50, v15, v9
	;; [unrolled: 1-line block ×3, first 2 shown]
	v_fma_f16 v12, v28, v12, -v43
	v_add_f16_e32 v14, v45, v3
	v_add_f16_e32 v15, v4, v34
	v_mul_f16_e32 v48, v38, v33
	v_mul_f16_e32 v38, v38, v23
	v_fmac_f16_e32 v47, v6, v22
	v_fma_f16 v6, v6, v32, -v37
	v_add_f16_e32 v20, v5, v12
	v_sub_f16_e32 v22, v5, v12
	v_add_f16_e32 v14, v14, v46
	v_add_f16_e32 v5, v15, v5
	v_fmac_f16_e32 v48, v7, v23
	v_fma_f16 v7, v7, v33, -v38
	v_lshrrev_b32_e32 v41, 16, v10
	v_add_f16_e32 v14, v14, v47
	v_add_f16_e32 v5, v5, v6
	v_fma_f16 v8, v24, v8, -v39
	v_lshrrev_b32_e32 v42, 16, v11
	v_lshrrev_b32_e32 v44, 16, v13
	v_add_f16_e32 v14, v14, v48
	v_add_f16_e32 v5, v5, v7
	v_mul_f16_e32 v51, v26, v41
	v_mul_f16_e32 v41, v16, v41
	v_fma_f16 v9, v25, v9, -v40
	v_add_f16_e32 v14, v14, v49
	v_add_f16_e32 v5, v5, v8
	v_mul_f16_e32 v52, v27, v42
	v_mul_f16_e32 v42, v17, v42
	;; [unrolled: 1-line block ×4, first 2 shown]
	v_fmac_f16_e32 v51, v16, v10
	v_fma_f16 v10, v26, v10, -v41
	v_add_f16_e32 v5, v5, v9
	v_add_f16_e32 v14, v14, v50
	v_fmac_f16_e32 v52, v17, v11
	v_fma_f16 v11, v27, v11, -v42
	v_fmac_f16_e32 v54, v19, v13
	v_fma_f16 v13, v29, v13, -v44
	v_add_f16_e32 v5, v5, v10
	v_add_f16_e32 v14, v14, v51
	;; [unrolled: 1-line block ×3, first 2 shown]
	v_sub_f16_e32 v25, v6, v11
	v_add_f16_e32 v17, v4, v13
	v_sub_f16_e32 v4, v4, v13
	v_add_f16_e32 v5, v5, v11
	v_add_f16_e32 v11, v14, v52
	;; [unrolled: 1-line block ×3, first 2 shown]
	v_sub_f16_e32 v18, v45, v54
	v_mul_f16_e32 v15, 0xb853, v4
	v_add_f16_e32 v5, v5, v12
	v_add_f16_e32 v11, v11, v53
	;; [unrolled: 1-line block ×3, first 2 shown]
	v_mul_f16_e32 v26, 0x3abb, v17
	v_mul_f16_e32 v27, 0xbb47, v4
	;; [unrolled: 1-line block ×10, first 2 shown]
	v_fmamk_f16 v6, v16, 0x3abb, v15
	v_add_f16_e32 v5, v5, v13
	v_add_f16_e32 v11, v11, v54
	v_sub_f16_e32 v21, v46, v53
	v_add_f16_e32 v23, v47, v52
	v_mul_f16_e32 v35, 0x36a6, v20
	v_mul_f16_e32 v36, 0xba0c, v22
	;; [unrolled: 1-line block ×10, first 2 shown]
	v_fmamk_f16 v43, v18, 0x3853, v26
	v_fma_f16 v15, v16, 0x3abb, -v15
	v_fmac_f16_e32 v26, 0xb853, v18
	v_fmamk_f16 v44, v16, 0x36a6, v27
	v_fmamk_f16 v45, v18, 0x3b47, v28
	v_fma_f16 v27, v16, 0x36a6, -v27
	v_fmac_f16_e32 v28, 0xbb47, v18
	v_fmamk_f16 v46, v16, 0xb08e, v29
	;; [unrolled: 4-line block ×5, first 2 shown]
	v_add_f16_e32 v6, v6, v3
	v_lshlrev_b32_e32 v5, 16, v5
	v_and_b32_e32 v11, 0xffff, v11
	v_fmamk_f16 v18, v21, 0x3b47, v35
	v_fma_f16 v33, v19, 0x36a6, -v33
	v_fmac_f16_e32 v35, 0xbb47, v21
	v_fmamk_f16 v60, v19, 0xb93d, v36
	v_fmamk_f16 v61, v21, 0x3a0c, v37
	v_fma_f16 v36, v19, 0xb93d, -v36
	v_fmac_f16_e32 v37, 0xba0c, v21
	v_fmamk_f16 v62, v19, 0xbbad, v38
	v_fmamk_f16 v63, v21, 0xb482, v39
	v_fma_f16 v38, v19, 0xbbad, -v38
	v_fmac_f16_e32 v39, 0x3482, v21
	v_fmamk_f16 v64, v19, 0xb08e, v40
	v_fmamk_f16 v65, v21, 0xbbeb, v41
	v_fma_f16 v40, v19, 0xb08e, -v40
	v_fmac_f16_e32 v41, 0x3beb, v21
	v_fmamk_f16 v66, v19, 0x3abb, v22
	v_fmamk_f16 v67, v21, 0xb853, v20
	v_fma_f16 v19, v19, 0x3abb, -v22
	v_add_f16_e32 v22, v43, v34
	v_add_f16_e32 v15, v15, v3
	;; [unrolled: 1-line block ×20, first 2 shown]
	v_or_b32_e32 v5, v5, v11
	v_fmac_f16_e32 v20, 0x3853, v21
	v_sub_f16_e32 v11, v47, v52
	v_fmamk_f16 v21, v23, 0xb08e, v42
	v_mul_f16_e32 v34, 0xb08e, v24
	v_add_f16_e32 v16, v18, v22
	v_add_f16_e32 v15, v33, v15
	;; [unrolled: 1-line block ×7, first 2 shown]
	v_fmamk_f16 v19, v11, 0x3beb, v34
	v_mul_f16_e32 v20, 0x3482, v25
	v_fma_f16 v21, v23, 0xb08e, -v42
	v_fmac_f16_e32 v34, 0xbbeb, v11
	v_mul_f16_e32 v36, 0xbbad, v24
	v_add_f16_e32 v14, v60, v43
	v_add_f16_e32 v18, v61, v44
	;; [unrolled: 1-line block ×3, first 2 shown]
	v_fmamk_f16 v19, v23, 0xbbad, v20
	v_add_f16_e32 v15, v21, v15
	v_add_f16_e32 v17, v34, v17
	v_fmamk_f16 v21, v11, 0xb482, v36
	v_mul_f16_e32 v34, 0x3b47, v25
	v_add_f16_e32 v26, v62, v45
	v_add_f16_e32 v14, v19, v14
	v_fma_f16 v19, v23, 0xbbad, -v20
	v_add_f16_e32 v18, v21, v18
	v_fmamk_f16 v20, v23, 0x36a6, v34
	v_mul_f16_e32 v21, 0x36a6, v24
	v_add_f16_e32 v12, v37, v28
	v_add_f16_e32 v28, v39, v30
	v_fmac_f16_e32 v36, 0x3482, v11
	v_add_f16_e32 v19, v19, v22
	v_mul_f16_e32 v22, 0xb853, v25
	v_add_f16_e32 v20, v20, v26
	v_fmamk_f16 v26, v11, 0xbb47, v21
	v_fmac_f16_e32 v21, 0x3b47, v11
	v_mul_f16_e32 v37, 0x3abb, v24
	v_add_f16_e32 v27, v63, v46
	v_add_f16_e32 v13, v38, v29
	;; [unrolled: 1-line block ×6, first 2 shown]
	v_fmamk_f16 v36, v23, 0x3abb, v22
	v_add_f16_e32 v21, v21, v28
	v_fmamk_f16 v28, v11, 0x3853, v37
	v_mul_f16_e32 v25, 0xba0c, v25
	v_fma_f16 v22, v23, 0x3abb, -v22
	v_fmac_f16_e32 v37, 0xb853, v11
	v_add_f16_e32 v30, v65, v56
	v_add_f16_e32 v33, v66, v57
	;; [unrolled: 1-line block ×4, first 2 shown]
	v_mul_f16_e32 v24, 0xb93d, v24
	v_fmamk_f16 v29, v23, 0xb93d, v25
	v_add_f16_e32 v22, v22, v31
	v_add_f16_e32 v31, v37, v32
	v_sub_f16_e32 v32, v7, v10
	v_add_f16_e32 v7, v7, v10
	v_fma_f16 v34, v23, 0x36a6, -v34
	v_add_f16_e32 v28, v28, v30
	v_fmamk_f16 v30, v11, 0x3a0c, v24
	v_add_f16_e32 v29, v29, v33
	v_add_f16_e32 v33, v48, v51
	v_mul_f16_e32 v10, 0xba0c, v32
	v_fma_f16 v23, v23, 0xb93d, -v25
	v_fmac_f16_e32 v24, 0xba0c, v11
	v_sub_f16_e32 v11, v48, v51
	v_mul_f16_e32 v25, 0xb93d, v7
	v_add_f16_e32 v13, v34, v13
	v_fmamk_f16 v34, v33, 0xb93d, v10
	v_add_f16_e32 v3, v23, v3
	v_add_f16_e32 v4, v24, v4
	v_mul_f16_e32 v23, 0x3beb, v32
	v_fmamk_f16 v24, v11, 0x3a0c, v25
	v_add_f16_e32 v6, v34, v6
	v_fma_f16 v10, v33, 0xb93d, -v10
	v_fmac_f16_e32 v25, 0xba0c, v11
	v_fmamk_f16 v34, v33, 0xb08e, v23
	v_add_f16_e32 v16, v24, v16
	v_mul_f16_e32 v24, 0xb08e, v7
	v_add_f16_e32 v35, v67, v58
	v_add_f16_e32 v10, v10, v15
	;; [unrolled: 1-line block ×4, first 2 shown]
	v_mul_f16_e32 v17, 0xb853, v32
	v_fmamk_f16 v25, v11, 0xbbeb, v24
	v_fma_f16 v23, v33, 0xb08e, -v23
	v_fmac_f16_e32 v24, 0x3beb, v11
	v_mul_f16_e32 v34, 0x3abb, v7
	v_add_f16_e32 v30, v30, v35
	v_fmamk_f16 v35, v33, 0x3abb, v17
	v_add_f16_e32 v19, v23, v19
	v_add_f16_e32 v12, v24, v12
	v_fmamk_f16 v23, v11, 0x3853, v34
	v_mul_f16_e32 v24, 0xb482, v32
	v_fma_f16 v17, v33, 0x3abb, -v17
	v_fmac_f16_e32 v34, 0xb853, v11
	v_add_f16_e32 v18, v25, v18
	v_add_f16_e32 v23, v23, v26
	v_mul_f16_e32 v25, 0xbbad, v7
	v_fmamk_f16 v26, v33, 0xbbad, v24
	v_add_f16_e32 v13, v17, v13
	v_add_f16_e32 v17, v34, v21
	v_mul_f16_e32 v21, 0x3b47, v32
	v_fmamk_f16 v32, v11, 0x3482, v25
	v_add_f16_e32 v26, v26, v27
	v_fma_f16 v24, v33, 0xbbad, -v24
	v_fmac_f16_e32 v25, 0xb482, v11
	v_fmamk_f16 v27, v33, 0x36a6, v21
	v_mul_f16_e32 v7, 0x36a6, v7
	v_add_f16_e32 v28, v32, v28
	v_add_f16_e32 v22, v24, v22
	;; [unrolled: 1-line block ×4, first 2 shown]
	v_sub_f16_e32 v27, v8, v9
	v_fmamk_f16 v29, v11, 0xbb47, v7
	v_add_f16_e32 v8, v8, v9
	v_add_f16_e32 v9, v49, v50
	v_fma_f16 v21, v33, 0x36a6, -v21
	v_mul_f16_e32 v31, 0xb482, v27
	v_fmac_f16_e32 v7, 0x3b47, v11
	v_sub_f16_e32 v11, v49, v50
	v_mul_f16_e32 v32, 0xbbad, v8
	v_add_f16_e32 v29, v29, v30
	v_fmamk_f16 v30, v9, 0xbbad, v31
	v_add_f16_e32 v3, v21, v3
	v_add_f16_e32 v4, v7, v4
	v_fmamk_f16 v7, v11, 0x3482, v32
	v_mul_f16_e32 v21, 0x3853, v27
	v_add_f16_e32 v6, v30, v6
	v_fma_f16 v30, v9, 0xbbad, -v31
	v_fmac_f16_e32 v32, 0xb482, v11
	v_add_f16_e32 v7, v7, v16
	v_fmamk_f16 v16, v9, 0x3abb, v21
	v_mul_f16_e32 v31, 0x3abb, v8
	v_add_f16_e32 v10, v30, v10
	v_mul_f16_e32 v30, 0xba0c, v27
	v_add_f16_e32 v20, v35, v20
	v_add_f16_e32 v15, v32, v15
	;; [unrolled: 1-line block ×3, first 2 shown]
	v_fmamk_f16 v16, v11, 0xb853, v31
	v_fma_f16 v21, v9, 0x3abb, -v21
	v_fmamk_f16 v32, v9, 0xb93d, v30
	v_mul_f16_e32 v33, 0xb93d, v8
	v_fmac_f16_e32 v31, 0x3853, v11
	v_add_f16_e32 v16, v16, v18
	v_add_f16_e32 v18, v21, v19
	v_add_f16_e32 v19, v32, v20
	v_fmamk_f16 v20, v11, 0x3a0c, v33
	v_mul_f16_e32 v21, 0x3b47, v27
	v_add_f16_e32 v12, v31, v12
	v_fma_f16 v30, v9, 0xb93d, -v30
	v_mul_f16_e32 v31, 0x36a6, v8
	v_add_f16_e32 v20, v20, v23
	v_fmamk_f16 v23, v9, 0x36a6, v21
	v_fma_f16 v21, v9, 0x36a6, -v21
	v_add_f16_e32 v13, v30, v13
	v_fmamk_f16 v30, v11, 0xbb47, v31
	v_mul_f16_e32 v8, 0xb08e, v8
	v_add_f16_e32 v23, v23, v26
	v_mul_f16_e32 v26, 0xbbeb, v27
	v_add_f16_e32 v21, v21, v22
	v_add_f16_e32 v27, v30, v28
	v_fmac_f16_e32 v31, 0x3b47, v11
	v_fmamk_f16 v28, v11, 0x3beb, v8
	v_fmamk_f16 v22, v9, 0xb08e, v26
	v_fma_f16 v9, v9, 0xb08e, -v26
	v_fmac_f16_e32 v8, 0xbbeb, v11
	v_fmac_f16_e32 v33, 0xba0c, v11
	v_add_f16_e32 v11, v31, v24
	v_add_f16_e32 v22, v22, v25
	;; [unrolled: 1-line block ×3, first 2 shown]
	v_add_nc_u32_e32 v9, s4, v0
	v_add_f16_e32 v24, v28, v29
	v_pack_b32_f16 v6, v6, v7
	v_add_f16_e32 v4, v8, v4
	v_pack_b32_f16 v7, v14, v16
	v_pack_b32_f16 v8, v19, v20
	v_add_f16_e32 v17, v33, v17
	v_cmp_gt_u32_e32 vcc_lo, s6, v9
	ds_store_2addr_b32 v2, v5, v6 offset1:11
	ds_store_2addr_b32 v2, v7, v8 offset0:22 offset1:33
	v_pack_b32_f16 v5, v23, v27
	v_pack_b32_f16 v6, v22, v24
	;; [unrolled: 1-line block ×7, first 2 shown]
	s_or_b32 s5, s5, vcc_lo
	ds_store_2addr_b32 v2, v5, v6 offset0:44 offset1:55
	ds_store_2addr_b32 v2, v3, v4 offset0:66 offset1:77
	;; [unrolled: 1-line block ×3, first 2 shown]
	ds_store_b32 v2, v10 offset:440
	global_wb scope:SCOPE_SE
	s_wait_dscnt 0x0
	s_barrier_signal -1
	s_barrier_wait -1
	global_inv scope:SCOPE_SE
	s_wait_alu 0xfffe
	s_and_saveexec_b32 s6, s5
	s_cbranch_execz .LBB0_13
; %bb.12:
	v_mad_co_u64_u32 v[2:3], null, s8, v0, 0
	v_mul_lo_u32 v4, s10, v1
	s_load_b64 s[0:1], s[0:1], 0x60
	v_mov_b32_e32 v5, 0
	v_mul_u32_u24_e32 v8, 0x1e4, v0
	s_mov_b32 s5, s3
	s_mul_i32 s10, s10, 11
	s_wait_alu 0xfffe
	s_mul_u64 s[4:5], s[8:9], s[4:5]
	s_mul_i32 s2, s2, s22
	v_mad_co_u64_u32 v[6:7], null, s9, v0, v[3:4]
	v_lshlrev_b32_e32 v0, 2, v1
	s_wait_alu 0xfffe
	s_lshl_b64 s[4:5], s[4:5], 2
	s_mul_u64 s[6:7], s[14:15], s[20:21]
	s_lshl_b64 s[2:3], s[2:3], 2
	s_wait_alu 0xfffe
	s_lshl_b64 s[6:7], s[6:7], 2
	v_add3_u32 v14, 0, v8, v0
	v_mov_b32_e32 v3, v6
	v_lshlrev_b64_e32 v[0:1], 2, v[4:5]
	v_add_nc_u32_e32 v4, s10, v4
	ds_load_2addr_b32 v[6:7], v14 offset1:11
	s_wait_kmcnt 0x0
	s_add_nc_u64 s[0:1], s[0:1], s[4:5]
	v_lshlrev_b64_e32 v[2:3], 2, v[2:3]
	s_wait_alu 0xfffe
	s_add_nc_u64 s[0:1], s[0:1], s[2:3]
	ds_load_2addr_b32 v[8:9], v14 offset0:22 offset1:33
	s_wait_alu 0xfffe
	s_add_nc_u64 s[0:1], s[0:1], s[6:7]
	v_lshlrev_b64_e32 v[10:11], 2, v[4:5]
	v_add_nc_u32_e32 v4, s10, v4
	s_wait_alu 0xfffe
	v_add_co_u32 v15, vcc_lo, s0, v2
	s_wait_alu 0xfffd
	v_add_co_ci_u32_e32 v16, vcc_lo, s1, v3, vcc_lo
	v_lshlrev_b64_e32 v[2:3], 2, v[4:5]
	s_delay_alu instid0(VALU_DEP_3) | instskip(SKIP_1) | instid1(VALU_DEP_3)
	v_add_co_u32 v0, vcc_lo, v15, v0
	s_wait_alu 0xfffd
	v_add_co_ci_u32_e32 v1, vcc_lo, v16, v1, vcc_lo
	v_add_co_u32 v10, vcc_lo, v15, v10
	s_wait_alu 0xfffd
	v_add_co_ci_u32_e32 v11, vcc_lo, v16, v11, vcc_lo
	v_add_nc_u32_e32 v4, s10, v4
	v_add_co_u32 v2, vcc_lo, v15, v2
	s_wait_alu 0xfffd
	v_add_co_ci_u32_e32 v3, vcc_lo, v16, v3, vcc_lo
	s_delay_alu instid0(VALU_DEP_3)
	v_lshlrev_b64_e32 v[12:13], 2, v[4:5]
	v_add_nc_u32_e32 v4, s10, v4
	s_wait_dscnt 0x1
	s_clause 0x1
	global_store_b32 v[0:1], v6, off
	global_store_b32 v[10:11], v7, off
	s_wait_dscnt 0x0
	global_store_b32 v[2:3], v8, off
	ds_load_2addr_b32 v[0:1], v14 offset0:44 offset1:55
	v_lshlrev_b64_e32 v[2:3], 2, v[4:5]
	v_add_nc_u32_e32 v4, s10, v4
	v_add_co_u32 v6, vcc_lo, v15, v12
	s_wait_alu 0xfffd
	v_add_co_ci_u32_e32 v7, vcc_lo, v16, v13, vcc_lo
	s_delay_alu instid0(VALU_DEP_3) | instskip(SKIP_4) | instid1(VALU_DEP_4)
	v_lshlrev_b64_e32 v[10:11], 2, v[4:5]
	v_add_nc_u32_e32 v4, s10, v4
	v_add_co_u32 v2, vcc_lo, v15, v2
	s_wait_alu 0xfffd
	v_add_co_ci_u32_e32 v3, vcc_lo, v16, v3, vcc_lo
	v_add_co_u32 v10, vcc_lo, v15, v10
	v_lshlrev_b64_e32 v[12:13], 2, v[4:5]
	v_add_nc_u32_e32 v4, s10, v4
	s_wait_alu 0xfffd
	v_add_co_ci_u32_e32 v11, vcc_lo, v16, v11, vcc_lo
	global_store_b32 v[6:7], v9, off
	s_wait_dscnt 0x0
	s_clause 0x1
	global_store_b32 v[2:3], v0, off
	global_store_b32 v[10:11], v1, off
	v_lshlrev_b64_e32 v[2:3], 2, v[4:5]
	v_add_nc_u32_e32 v4, s10, v4
	ds_load_2addr_b32 v[0:1], v14 offset0:66 offset1:77
	ds_load_2addr_b32 v[8:9], v14 offset0:88 offset1:99
	v_add_co_u32 v6, vcc_lo, v15, v12
	v_lshlrev_b64_e32 v[10:11], 2, v[4:5]
	v_add_nc_u32_e32 v4, s10, v4
	ds_load_b32 v14, v14 offset:440
	s_wait_alu 0xfffd
	v_add_co_ci_u32_e32 v7, vcc_lo, v16, v13, vcc_lo
	v_add_co_u32 v2, vcc_lo, v15, v2
	v_lshlrev_b64_e32 v[12:13], 2, v[4:5]
	v_add_nc_u32_e32 v4, s10, v4
	s_wait_alu 0xfffd
	v_add_co_ci_u32_e32 v3, vcc_lo, v16, v3, vcc_lo
	v_add_co_u32 v10, vcc_lo, v15, v10
	s_delay_alu instid0(VALU_DEP_3)
	v_lshlrev_b64_e32 v[4:5], 2, v[4:5]
	s_wait_alu 0xfffd
	v_add_co_ci_u32_e32 v11, vcc_lo, v16, v11, vcc_lo
	v_add_co_u32 v12, vcc_lo, v15, v12
	s_wait_alu 0xfffd
	v_add_co_ci_u32_e32 v13, vcc_lo, v16, v13, vcc_lo
	v_add_co_u32 v4, vcc_lo, v15, v4
	s_wait_alu 0xfffd
	v_add_co_ci_u32_e32 v5, vcc_lo, v16, v5, vcc_lo
	s_wait_dscnt 0x2
	s_clause 0x1
	global_store_b32 v[6:7], v0, off
	global_store_b32 v[2:3], v1, off
	s_wait_dscnt 0x1
	s_clause 0x1
	global_store_b32 v[10:11], v8, off
	global_store_b32 v[12:13], v9, off
	s_wait_dscnt 0x0
	global_store_b32 v[4:5], v14, off
.LBB0_13:
	s_nop 0
	s_sendmsg sendmsg(MSG_DEALLOC_VGPRS)
	s_endpgm
	.section	.rodata,"a",@progbits
	.p2align	6, 0x0
	.amdhsa_kernel fft_rtc_back_len121_factors_11_11_wgs_121_tpt_11_half_op_CI_CI_sbrc_xy_z_unaligned
		.amdhsa_group_segment_fixed_size 0
		.amdhsa_private_segment_fixed_size 0
		.amdhsa_kernarg_size 104
		.amdhsa_user_sgpr_count 2
		.amdhsa_user_sgpr_dispatch_ptr 0
		.amdhsa_user_sgpr_queue_ptr 0
		.amdhsa_user_sgpr_kernarg_segment_ptr 1
		.amdhsa_user_sgpr_dispatch_id 0
		.amdhsa_user_sgpr_private_segment_size 0
		.amdhsa_wavefront_size32 1
		.amdhsa_uses_dynamic_stack 0
		.amdhsa_enable_private_segment 0
		.amdhsa_system_sgpr_workgroup_id_x 1
		.amdhsa_system_sgpr_workgroup_id_y 0
		.amdhsa_system_sgpr_workgroup_id_z 0
		.amdhsa_system_sgpr_workgroup_info 0
		.amdhsa_system_vgpr_workitem_id 0
		.amdhsa_next_free_vgpr 68
		.amdhsa_next_free_sgpr 32
		.amdhsa_reserve_vcc 1
		.amdhsa_float_round_mode_32 0
		.amdhsa_float_round_mode_16_64 0
		.amdhsa_float_denorm_mode_32 3
		.amdhsa_float_denorm_mode_16_64 3
		.amdhsa_fp16_overflow 0
		.amdhsa_workgroup_processor_mode 1
		.amdhsa_memory_ordered 1
		.amdhsa_forward_progress 0
		.amdhsa_round_robin_scheduling 0
		.amdhsa_exception_fp_ieee_invalid_op 0
		.amdhsa_exception_fp_denorm_src 0
		.amdhsa_exception_fp_ieee_div_zero 0
		.amdhsa_exception_fp_ieee_overflow 0
		.amdhsa_exception_fp_ieee_underflow 0
		.amdhsa_exception_fp_ieee_inexact 0
		.amdhsa_exception_int_div_zero 0
	.end_amdhsa_kernel
	.text
.Lfunc_end0:
	.size	fft_rtc_back_len121_factors_11_11_wgs_121_tpt_11_half_op_CI_CI_sbrc_xy_z_unaligned, .Lfunc_end0-fft_rtc_back_len121_factors_11_11_wgs_121_tpt_11_half_op_CI_CI_sbrc_xy_z_unaligned
                                        ; -- End function
	.section	.AMDGPU.csdata,"",@progbits
; Kernel info:
; codeLenInByte = 7136
; NumSgprs: 34
; NumVgprs: 68
; ScratchSize: 0
; MemoryBound: 0
; FloatMode: 240
; IeeeMode: 1
; LDSByteSize: 0 bytes/workgroup (compile time only)
; SGPRBlocks: 4
; VGPRBlocks: 8
; NumSGPRsForWavesPerEU: 34
; NumVGPRsForWavesPerEU: 68
; Occupancy: 16
; WaveLimiterHint : 1
; COMPUTE_PGM_RSRC2:SCRATCH_EN: 0
; COMPUTE_PGM_RSRC2:USER_SGPR: 2
; COMPUTE_PGM_RSRC2:TRAP_HANDLER: 0
; COMPUTE_PGM_RSRC2:TGID_X_EN: 1
; COMPUTE_PGM_RSRC2:TGID_Y_EN: 0
; COMPUTE_PGM_RSRC2:TGID_Z_EN: 0
; COMPUTE_PGM_RSRC2:TIDIG_COMP_CNT: 0
	.text
	.p2alignl 7, 3214868480
	.fill 96, 4, 3214868480
	.type	__hip_cuid_a47569b58daccd1c,@object ; @__hip_cuid_a47569b58daccd1c
	.section	.bss,"aw",@nobits
	.globl	__hip_cuid_a47569b58daccd1c
__hip_cuid_a47569b58daccd1c:
	.byte	0                               ; 0x0
	.size	__hip_cuid_a47569b58daccd1c, 1

	.ident	"AMD clang version 19.0.0git (https://github.com/RadeonOpenCompute/llvm-project roc-6.4.0 25133 c7fe45cf4b819c5991fe208aaa96edf142730f1d)"
	.section	".note.GNU-stack","",@progbits
	.addrsig
	.addrsig_sym __hip_cuid_a47569b58daccd1c
	.amdgpu_metadata
---
amdhsa.kernels:
  - .args:
      - .actual_access:  read_only
        .address_space:  global
        .offset:         0
        .size:           8
        .value_kind:     global_buffer
      - .offset:         8
        .size:           8
        .value_kind:     by_value
      - .actual_access:  read_only
        .address_space:  global
        .offset:         16
        .size:           8
        .value_kind:     global_buffer
      - .actual_access:  read_only
        .address_space:  global
        .offset:         24
        .size:           8
        .value_kind:     global_buffer
      - .actual_access:  read_only
        .address_space:  global
        .offset:         32
        .size:           8
        .value_kind:     global_buffer
      - .offset:         40
        .size:           8
        .value_kind:     by_value
      - .actual_access:  read_only
        .address_space:  global
        .offset:         48
        .size:           8
        .value_kind:     global_buffer
      - .actual_access:  read_only
        .address_space:  global
        .offset:         56
        .size:           8
        .value_kind:     global_buffer
      - .offset:         64
        .size:           4
        .value_kind:     by_value
      - .actual_access:  read_only
        .address_space:  global
        .offset:         72
        .size:           8
        .value_kind:     global_buffer
      - .actual_access:  read_only
        .address_space:  global
        .offset:         80
        .size:           8
        .value_kind:     global_buffer
      - .actual_access:  read_only
        .address_space:  global
        .offset:         88
        .size:           8
        .value_kind:     global_buffer
      - .actual_access:  write_only
        .address_space:  global
        .offset:         96
        .size:           8
        .value_kind:     global_buffer
    .group_segment_fixed_size: 0
    .kernarg_segment_align: 8
    .kernarg_segment_size: 104
    .language:       OpenCL C
    .language_version:
      - 2
      - 0
    .max_flat_workgroup_size: 121
    .name:           fft_rtc_back_len121_factors_11_11_wgs_121_tpt_11_half_op_CI_CI_sbrc_xy_z_unaligned
    .private_segment_fixed_size: 0
    .sgpr_count:     34
    .sgpr_spill_count: 0
    .symbol:         fft_rtc_back_len121_factors_11_11_wgs_121_tpt_11_half_op_CI_CI_sbrc_xy_z_unaligned.kd
    .uniform_work_group_size: 1
    .uses_dynamic_stack: false
    .vgpr_count:     68
    .vgpr_spill_count: 0
    .wavefront_size: 32
    .workgroup_processor_mode: 1
amdhsa.target:   amdgcn-amd-amdhsa--gfx1201
amdhsa.version:
  - 1
  - 2
...

	.end_amdgpu_metadata
